;; amdgpu-corpus repo=ROCm/rocFFT kind=compiled arch=gfx906 opt=O3
	.text
	.amdgcn_target "amdgcn-amd-amdhsa--gfx906"
	.amdhsa_code_object_version 6
	.protected	fft_rtc_back_len1638_factors_13_2_3_7_3_wgs_182_tpt_182_halfLds_sp_ip_CI_unitstride_sbrr_R2C_dirReg ; -- Begin function fft_rtc_back_len1638_factors_13_2_3_7_3_wgs_182_tpt_182_halfLds_sp_ip_CI_unitstride_sbrr_R2C_dirReg
	.globl	fft_rtc_back_len1638_factors_13_2_3_7_3_wgs_182_tpt_182_halfLds_sp_ip_CI_unitstride_sbrr_R2C_dirReg
	.p2align	8
	.type	fft_rtc_back_len1638_factors_13_2_3_7_3_wgs_182_tpt_182_halfLds_sp_ip_CI_unitstride_sbrr_R2C_dirReg,@function
fft_rtc_back_len1638_factors_13_2_3_7_3_wgs_182_tpt_182_halfLds_sp_ip_CI_unitstride_sbrr_R2C_dirReg: ; @fft_rtc_back_len1638_factors_13_2_3_7_3_wgs_182_tpt_182_halfLds_sp_ip_CI_unitstride_sbrr_R2C_dirReg
; %bb.0:
	s_load_dwordx2 s[12:13], s[4:5], 0x50
	s_load_dwordx4 s[8:11], s[4:5], 0x0
	s_load_dwordx2 s[2:3], s[4:5], 0x18
	v_mul_u32_u24_e32 v1, 0x169, v0
	v_add_u32_sdwa v5, s6, v1 dst_sel:DWORD dst_unused:UNUSED_PAD src0_sel:DWORD src1_sel:WORD_1
	v_mov_b32_e32 v3, 0
	s_waitcnt lgkmcnt(0)
	v_cmp_lt_u64_e64 s[0:1], s[10:11], 2
	v_mov_b32_e32 v1, 0
	v_mov_b32_e32 v6, v3
	s_and_b64 vcc, exec, s[0:1]
	v_mov_b32_e32 v2, 0
	s_cbranch_vccnz .LBB0_8
; %bb.1:
	s_load_dwordx2 s[0:1], s[4:5], 0x10
	s_add_u32 s6, s2, 8
	s_addc_u32 s7, s3, 0
	v_mov_b32_e32 v1, 0
	v_mov_b32_e32 v2, 0
	s_waitcnt lgkmcnt(0)
	s_add_u32 s14, s0, 8
	s_addc_u32 s15, s1, 0
	s_mov_b64 s[16:17], 1
.LBB0_2:                                ; =>This Inner Loop Header: Depth=1
	s_load_dwordx2 s[18:19], s[14:15], 0x0
                                        ; implicit-def: $vgpr7_vgpr8
	s_waitcnt lgkmcnt(0)
	v_or_b32_e32 v4, s19, v6
	v_cmp_ne_u64_e32 vcc, 0, v[3:4]
	s_and_saveexec_b64 s[0:1], vcc
	s_xor_b64 s[20:21], exec, s[0:1]
	s_cbranch_execz .LBB0_4
; %bb.3:                                ;   in Loop: Header=BB0_2 Depth=1
	v_cvt_f32_u32_e32 v4, s18
	v_cvt_f32_u32_e32 v7, s19
	s_sub_u32 s0, 0, s18
	s_subb_u32 s1, 0, s19
	v_mac_f32_e32 v4, 0x4f800000, v7
	v_rcp_f32_e32 v4, v4
	v_mul_f32_e32 v4, 0x5f7ffffc, v4
	v_mul_f32_e32 v7, 0x2f800000, v4
	v_trunc_f32_e32 v7, v7
	v_mac_f32_e32 v4, 0xcf800000, v7
	v_cvt_u32_f32_e32 v7, v7
	v_cvt_u32_f32_e32 v4, v4
	v_mul_lo_u32 v8, s0, v7
	v_mul_hi_u32 v9, s0, v4
	v_mul_lo_u32 v11, s1, v4
	v_mul_lo_u32 v10, s0, v4
	v_add_u32_e32 v8, v9, v8
	v_add_u32_e32 v8, v8, v11
	v_mul_hi_u32 v9, v4, v10
	v_mul_lo_u32 v11, v4, v8
	v_mul_hi_u32 v13, v4, v8
	v_mul_hi_u32 v12, v7, v10
	v_mul_lo_u32 v10, v7, v10
	v_mul_hi_u32 v14, v7, v8
	v_add_co_u32_e32 v9, vcc, v9, v11
	v_addc_co_u32_e32 v11, vcc, 0, v13, vcc
	v_mul_lo_u32 v8, v7, v8
	v_add_co_u32_e32 v9, vcc, v9, v10
	v_addc_co_u32_e32 v9, vcc, v11, v12, vcc
	v_addc_co_u32_e32 v10, vcc, 0, v14, vcc
	v_add_co_u32_e32 v8, vcc, v9, v8
	v_addc_co_u32_e32 v9, vcc, 0, v10, vcc
	v_add_co_u32_e32 v4, vcc, v4, v8
	v_addc_co_u32_e32 v7, vcc, v7, v9, vcc
	v_mul_lo_u32 v8, s0, v7
	v_mul_hi_u32 v9, s0, v4
	v_mul_lo_u32 v10, s1, v4
	v_mul_lo_u32 v11, s0, v4
	v_add_u32_e32 v8, v9, v8
	v_add_u32_e32 v8, v8, v10
	v_mul_lo_u32 v12, v4, v8
	v_mul_hi_u32 v13, v4, v11
	v_mul_hi_u32 v14, v4, v8
	;; [unrolled: 1-line block ×3, first 2 shown]
	v_mul_lo_u32 v11, v7, v11
	v_mul_hi_u32 v9, v7, v8
	v_add_co_u32_e32 v12, vcc, v13, v12
	v_addc_co_u32_e32 v13, vcc, 0, v14, vcc
	v_mul_lo_u32 v8, v7, v8
	v_add_co_u32_e32 v11, vcc, v12, v11
	v_addc_co_u32_e32 v10, vcc, v13, v10, vcc
	v_addc_co_u32_e32 v9, vcc, 0, v9, vcc
	v_add_co_u32_e32 v8, vcc, v10, v8
	v_addc_co_u32_e32 v9, vcc, 0, v9, vcc
	v_add_co_u32_e32 v4, vcc, v4, v8
	v_addc_co_u32_e32 v9, vcc, v7, v9, vcc
	v_mad_u64_u32 v[7:8], s[0:1], v5, v9, 0
	v_mul_hi_u32 v10, v5, v4
	v_add_co_u32_e32 v11, vcc, v10, v7
	v_addc_co_u32_e32 v12, vcc, 0, v8, vcc
	v_mad_u64_u32 v[7:8], s[0:1], v6, v4, 0
	v_mad_u64_u32 v[9:10], s[0:1], v6, v9, 0
	v_add_co_u32_e32 v4, vcc, v11, v7
	v_addc_co_u32_e32 v4, vcc, v12, v8, vcc
	v_addc_co_u32_e32 v7, vcc, 0, v10, vcc
	v_add_co_u32_e32 v4, vcc, v4, v9
	v_addc_co_u32_e32 v9, vcc, 0, v7, vcc
	v_mul_lo_u32 v10, s19, v4
	v_mul_lo_u32 v11, s18, v9
	v_mad_u64_u32 v[7:8], s[0:1], s18, v4, 0
	v_add3_u32 v8, v8, v11, v10
	v_sub_u32_e32 v10, v6, v8
	v_mov_b32_e32 v11, s19
	v_sub_co_u32_e32 v7, vcc, v5, v7
	v_subb_co_u32_e64 v10, s[0:1], v10, v11, vcc
	v_subrev_co_u32_e64 v11, s[0:1], s18, v7
	v_subbrev_co_u32_e64 v10, s[0:1], 0, v10, s[0:1]
	v_cmp_le_u32_e64 s[0:1], s19, v10
	v_cndmask_b32_e64 v12, 0, -1, s[0:1]
	v_cmp_le_u32_e64 s[0:1], s18, v11
	v_cndmask_b32_e64 v11, 0, -1, s[0:1]
	v_cmp_eq_u32_e64 s[0:1], s19, v10
	v_cndmask_b32_e64 v10, v12, v11, s[0:1]
	v_add_co_u32_e64 v11, s[0:1], 2, v4
	v_addc_co_u32_e64 v12, s[0:1], 0, v9, s[0:1]
	v_add_co_u32_e64 v13, s[0:1], 1, v4
	v_addc_co_u32_e64 v14, s[0:1], 0, v9, s[0:1]
	v_subb_co_u32_e32 v8, vcc, v6, v8, vcc
	v_cmp_ne_u32_e64 s[0:1], 0, v10
	v_cmp_le_u32_e32 vcc, s19, v8
	v_cndmask_b32_e64 v10, v14, v12, s[0:1]
	v_cndmask_b32_e64 v12, 0, -1, vcc
	v_cmp_le_u32_e32 vcc, s18, v7
	v_cndmask_b32_e64 v7, 0, -1, vcc
	v_cmp_eq_u32_e32 vcc, s19, v8
	v_cndmask_b32_e32 v7, v12, v7, vcc
	v_cmp_ne_u32_e32 vcc, 0, v7
	v_cndmask_b32_e64 v7, v13, v11, s[0:1]
	v_cndmask_b32_e32 v8, v9, v10, vcc
	v_cndmask_b32_e32 v7, v4, v7, vcc
.LBB0_4:                                ;   in Loop: Header=BB0_2 Depth=1
	s_andn2_saveexec_b64 s[0:1], s[20:21]
	s_cbranch_execz .LBB0_6
; %bb.5:                                ;   in Loop: Header=BB0_2 Depth=1
	v_cvt_f32_u32_e32 v4, s18
	s_sub_i32 s20, 0, s18
	v_rcp_iflag_f32_e32 v4, v4
	v_mul_f32_e32 v4, 0x4f7ffffe, v4
	v_cvt_u32_f32_e32 v4, v4
	v_mul_lo_u32 v7, s20, v4
	v_mul_hi_u32 v7, v4, v7
	v_add_u32_e32 v4, v4, v7
	v_mul_hi_u32 v4, v5, v4
	v_mul_lo_u32 v7, v4, s18
	v_add_u32_e32 v8, 1, v4
	v_sub_u32_e32 v7, v5, v7
	v_subrev_u32_e32 v9, s18, v7
	v_cmp_le_u32_e32 vcc, s18, v7
	v_cndmask_b32_e32 v7, v7, v9, vcc
	v_cndmask_b32_e32 v4, v4, v8, vcc
	v_add_u32_e32 v8, 1, v4
	v_cmp_le_u32_e32 vcc, s18, v7
	v_cndmask_b32_e32 v7, v4, v8, vcc
	v_mov_b32_e32 v8, v3
.LBB0_6:                                ;   in Loop: Header=BB0_2 Depth=1
	s_or_b64 exec, exec, s[0:1]
	v_mul_lo_u32 v4, v8, s18
	v_mul_lo_u32 v11, v7, s19
	v_mad_u64_u32 v[9:10], s[0:1], v7, s18, 0
	s_load_dwordx2 s[0:1], s[6:7], 0x0
	s_add_u32 s16, s16, 1
	v_add3_u32 v4, v10, v11, v4
	v_sub_co_u32_e32 v5, vcc, v5, v9
	v_subb_co_u32_e32 v4, vcc, v6, v4, vcc
	s_waitcnt lgkmcnt(0)
	v_mul_lo_u32 v4, s0, v4
	v_mul_lo_u32 v6, s1, v5
	v_mad_u64_u32 v[1:2], s[0:1], s0, v5, v[1:2]
	s_addc_u32 s17, s17, 0
	s_add_u32 s6, s6, 8
	v_add3_u32 v2, v6, v2, v4
	v_mov_b32_e32 v4, s10
	v_mov_b32_e32 v5, s11
	s_addc_u32 s7, s7, 0
	v_cmp_ge_u64_e32 vcc, s[16:17], v[4:5]
	s_add_u32 s14, s14, 8
	s_addc_u32 s15, s15, 0
	s_cbranch_vccnz .LBB0_9
; %bb.7:                                ;   in Loop: Header=BB0_2 Depth=1
	v_mov_b32_e32 v5, v7
	v_mov_b32_e32 v6, v8
	s_branch .LBB0_2
.LBB0_8:
	v_mov_b32_e32 v8, v6
	v_mov_b32_e32 v7, v5
.LBB0_9:
	s_lshl_b64 s[0:1], s[10:11], 3
	s_add_u32 s0, s2, s0
	s_addc_u32 s1, s3, s1
	s_load_dwordx2 s[2:3], s[0:1], 0x0
	s_load_dwordx2 s[6:7], s[4:5], 0x20
	s_waitcnt lgkmcnt(0)
	v_mad_u64_u32 v[1:2], s[0:1], s2, v7, v[1:2]
	s_mov_b32 s0, 0x1681682
	v_mul_lo_u32 v3, s2, v8
	v_mul_lo_u32 v4, s3, v7
	v_mul_hi_u32 v5, v0, s0
	v_cmp_gt_u64_e64 s[0:1], s[6:7], v[7:8]
	v_add3_u32 v2, v4, v2, v3
	v_mul_u32_u24_e32 v3, 0xb6, v5
	v_sub_u32_e32 v32, v0, v3
	v_lshlrev_b64 v[34:35], 3, v[1:2]
	v_lshl_add_u32 v40, v32, 3, 0
	s_and_saveexec_b64 s[2:3], s[0:1]
	s_cbranch_execz .LBB0_11
; %bb.10:
	v_mov_b32_e32 v33, 0
	v_mov_b32_e32 v0, s13
	v_add_co_u32_e32 v2, vcc, s12, v34
	v_addc_co_u32_e32 v3, vcc, v0, v35, vcc
	v_lshlrev_b64 v[0:1], 3, v[32:33]
	s_movk_i32 s4, 0x1000
	v_add_co_u32_e32 v0, vcc, v2, v0
	v_addc_co_u32_e32 v1, vcc, v3, v1, vcc
	v_add_co_u32_e32 v2, vcc, s4, v0
	v_addc_co_u32_e32 v3, vcc, 0, v1, vcc
	global_load_dwordx2 v[4:5], v[2:3], off offset:272
	global_load_dwordx2 v[6:7], v[0:1], off
	global_load_dwordx2 v[8:9], v[0:1], off offset:2912
	global_load_dwordx2 v[10:11], v[0:1], off offset:1456
	v_add_co_u32_e32 v0, vcc, 0x2000, v0
	v_addc_co_u32_e32 v1, vcc, 0, v1, vcc
	global_load_dwordx2 v[12:13], v[2:3], off offset:1728
	global_load_dwordx2 v[14:15], v[2:3], off offset:3184
	;; [unrolled: 1-line block ×5, first 2 shown]
	v_add_u32_e32 v0, 0xa00, v40
	v_add_u32_e32 v1, 0x1600, v40
	;; [unrolled: 1-line block ×3, first 2 shown]
	s_waitcnt vmcnt(6)
	ds_write2_b64 v0, v[8:9], v[4:5] offset0:44 offset1:226
	s_waitcnt vmcnt(5)
	ds_write2_b64 v40, v[6:7], v[10:11] offset1:182
	s_waitcnt vmcnt(3)
	ds_write2_b64 v1, v[12:13], v[14:15] offset0:24 offset1:206
	s_waitcnt vmcnt(1)
	ds_write2_b64 v2, v[16:17], v[18:19] offset0:68 offset1:250
	s_waitcnt vmcnt(0)
	ds_write_b64 v40, v[20:21] offset:11648
.LBB0_11:
	s_or_b64 exec, exec, s[2:3]
	s_waitcnt lgkmcnt(0)
	s_barrier
	ds_read2_b64 v[8:11], v40 offset1:126
	ds_read_b64 v[2:3], v40 offset:12096
	v_add_u32_e32 v0, 0x400, v40
	v_add_u32_e32 v33, 0x2400, v40
	ds_read2_b64 v[12:15], v0 offset0:124 offset1:250
	ds_read2_b64 v[16:19], v33 offset0:108 offset1:234
	s_waitcnt lgkmcnt(2)
	v_sub_f32_e32 v63, v11, v3
	v_add_f32_e32 v49, v2, v10
	s_mov_b32 s4, 0x3f62ad3f
	v_mul_f32_e32 v41, 0xbeedf032, v63
	s_waitcnt lgkmcnt(0)
	v_sub_f32_e32 v80, v13, v19
	v_fma_f32 v0, v49, s4, -v41
	s_mov_b32 s5, 0x3f116cb1
	v_add_f32_e32 v50, v18, v12
	v_mul_f32_e32 v42, 0xbf52af12, v80
	v_add_f32_e32 v74, v3, v11
	v_add_f32_e32 v0, v8, v0
	v_fma_f32 v1, v50, s5, -v42
	v_mul_f32_e32 v43, 0x3f62ad3f, v74
	v_add_f32_e32 v77, v19, v13
	v_add_f32_e32 v0, v1, v0
	v_sub_f32_e32 v56, v10, v2
	v_mov_b32_e32 v1, v43
	v_mul_f32_e32 v44, 0x3f116cb1, v77
	v_fmac_f32_e32 v1, 0xbeedf032, v56
	v_sub_f32_e32 v52, v12, v18
	v_mov_b32_e32 v4, v44
	v_sub_f32_e32 v88, v15, v17
	v_add_f32_e32 v1, v9, v1
	v_fmac_f32_e32 v4, 0xbf52af12, v52
	s_mov_b32 s6, 0x3df6dbef
	v_add_f32_e32 v54, v16, v14
	v_mul_f32_e32 v45, 0xbf7e222b, v88
	v_add_f32_e32 v1, v4, v1
	v_fma_f32 v4, v54, s6, -v45
	v_add_f32_e32 v0, v4, v0
	v_add_u32_e32 v4, 0xc00, v40
	v_add_u32_e32 v5, 0x1c00, v40
	ds_read2_b64 v[24:27], v4 offset0:120 offset1:246
	ds_read2_b64 v[20:23], v5 offset0:112 offset1:238
	v_add_f32_e32 v85, v17, v15
	v_mul_f32_e32 v46, 0x3df6dbef, v85
	v_sub_f32_e32 v55, v14, v16
	v_mov_b32_e32 v4, v46
	s_waitcnt lgkmcnt(0)
	v_sub_f32_e32 v96, v25, v23
	v_fmac_f32_e32 v4, 0xbf7e222b, v55
	s_mov_b32 s7, 0xbeb58ec6
	v_add_f32_e32 v57, v22, v24
	v_mul_f32_e32 v47, 0xbf6f5d39, v96
	v_add_f32_e32 v95, v23, v25
	v_add_f32_e32 v1, v4, v1
	v_fma_f32 v4, v57, s7, -v47
	v_mul_f32_e32 v48, 0xbeb58ec6, v95
	v_add_f32_e32 v0, v4, v0
	v_sub_f32_e32 v59, v24, v22
	v_mov_b32_e32 v4, v48
	v_sub_f32_e32 v104, v27, v21
	v_fmac_f32_e32 v4, 0xbf6f5d39, v59
	s_mov_b32 s10, 0xbf3f9e67
	v_add_f32_e32 v61, v20, v26
	v_mul_f32_e32 v51, 0xbf29c268, v104
	v_add_f32_e32 v1, v4, v1
	v_fma_f32 v4, v61, s10, -v51
	v_add_f32_e32 v0, v4, v0
	v_add_u32_e32 v4, 0x1400, v40
	ds_read2_b64 v[28:31], v4 offset0:116 offset1:242
	v_add_f32_e32 v97, v21, v27
	v_mul_f32_e32 v53, 0xbf3f9e67, v97
	v_sub_f32_e32 v62, v26, v20
	v_mov_b32_e32 v4, v53
	s_waitcnt lgkmcnt(0)
	v_add_f32_e32 v105, v31, v29
	v_fmac_f32_e32 v4, 0xbf29c268, v62
	v_mul_f32_e32 v60, 0xbf788fa5, v105
	v_add_f32_e32 v1, v4, v1
	v_sub_f32_e32 v69, v28, v30
	v_mov_b32_e32 v4, v60
	v_sub_f32_e32 v112, v29, v31
	s_mov_b32 s11, 0xbf788fa5
	v_fmac_f32_e32 v4, 0xbe750f2a, v69
	v_add_f32_e32 v73, v30, v28
	v_mul_f32_e32 v58, 0xbe750f2a, v112
	v_mul_f32_e32 v64, 0xbf52af12, v63
	v_fma_f32 v5, v73, s11, -v58
	v_add_f32_e32 v1, v4, v1
	v_fma_f32 v4, v49, s5, -v64
	v_mul_f32_e32 v65, 0xbf6f5d39, v80
	v_add_f32_e32 v0, v5, v0
	v_add_f32_e32 v4, v8, v4
	v_fma_f32 v5, v50, s7, -v65
	v_mul_f32_e32 v68, 0x3f116cb1, v74
	v_add_f32_e32 v4, v5, v4
	v_mov_b32_e32 v5, v68
	v_mul_f32_e32 v70, 0xbeb58ec6, v77
	v_fmac_f32_e32 v5, 0xbf52af12, v56
	v_mov_b32_e32 v6, v70
	v_add_f32_e32 v5, v9, v5
	v_fmac_f32_e32 v6, 0xbf6f5d39, v52
	v_mul_f32_e32 v66, 0xbe750f2a, v88
	v_add_f32_e32 v5, v6, v5
	v_fma_f32 v6, v54, s11, -v66
	v_mul_f32_e32 v72, 0xbf788fa5, v85
	v_add_f32_e32 v4, v6, v4
	v_mov_b32_e32 v6, v72
	v_fmac_f32_e32 v6, 0xbe750f2a, v55
	v_mul_f32_e32 v67, 0x3f29c268, v96
	v_add_f32_e32 v5, v6, v5
	v_fma_f32 v6, v57, s10, -v67
	v_mul_f32_e32 v75, 0xbf3f9e67, v95
	v_add_f32_e32 v4, v6, v4
	v_mov_b32_e32 v6, v75
	;; [unrolled: 7-line block ×3, first 2 shown]
	v_fmac_f32_e32 v6, 0x3f7e222b, v62
	v_mul_f32_e32 v79, 0x3f62ad3f, v105
	v_mul_f32_e32 v76, 0x3eedf032, v112
	v_add_f32_e32 v5, v6, v5
	v_mov_b32_e32 v7, v79
	v_fma_f32 v6, v73, s4, -v76
	v_mul_f32_e32 v81, 0xbf7e222b, v63
	v_fmac_f32_e32 v7, 0x3eedf032, v69
	v_add_f32_e32 v6, v6, v4
	v_fma_f32 v4, v49, s6, -v81
	v_mul_f32_e32 v82, 0xbe750f2a, v80
	v_add_f32_e32 v7, v7, v5
	v_add_f32_e32 v4, v8, v4
	v_fma_f32 v5, v50, s11, -v82
	v_mul_f32_e32 v83, 0x3f6f5d39, v88
	v_add_f32_e32 v4, v5, v4
	v_fma_f32 v5, v54, s7, -v83
	v_mul_f32_e32 v84, 0x3eedf032, v96
	;; [unrolled: 3-line block ×5, first 2 shown]
	v_add_f32_e32 v4, v5, v4
	v_mov_b32_e32 v5, v90
	v_mul_f32_e32 v92, 0xbf788fa5, v77
	v_fmac_f32_e32 v5, 0xbf7e222b, v56
	v_mov_b32_e32 v36, v92
	v_add_f32_e32 v5, v9, v5
	v_fmac_f32_e32 v36, 0xbe750f2a, v52
	v_mul_f32_e32 v91, 0xbeb58ec6, v85
	v_add_f32_e32 v5, v36, v5
	v_mov_b32_e32 v36, v91
	v_fmac_f32_e32 v36, 0x3f6f5d39, v55
	v_mul_f32_e32 v89, 0x3f62ad3f, v95
	v_add_f32_e32 v5, v36, v5
	v_mov_b32_e32 v36, v89
	;; [unrolled: 4-line block ×4, first 2 shown]
	v_fmac_f32_e32 v36, 0xbf29c268, v69
	v_mul_f32_e32 v101, 0xbf6f5d39, v63
	v_add_f32_e32 v5, v36, v5
	v_fma_f32 v36, v49, s7, -v101
	v_mul_f32_e32 v98, 0x3f29c268, v80
	v_add_f32_e32 v36, v8, v36
	v_fma_f32 v37, v50, s10, -v98
	v_mul_f32_e32 v109, 0xbeb58ec6, v74
	v_add_f32_e32 v36, v37, v36
	v_mov_b32_e32 v37, v109
	v_mul_f32_e32 v107, 0xbf3f9e67, v77
	v_fmac_f32_e32 v37, 0xbf6f5d39, v56
	v_mov_b32_e32 v38, v107
	v_add_f32_e32 v37, v9, v37
	v_fmac_f32_e32 v38, 0x3f29c268, v52
	v_mul_f32_e32 v103, 0x3eedf032, v88
	v_add_f32_e32 v37, v38, v37
	v_fma_f32 v38, v54, s4, -v103
	v_mul_f32_e32 v106, 0x3f62ad3f, v85
	v_add_f32_e32 v36, v38, v36
	v_mov_b32_e32 v38, v106
	v_fmac_f32_e32 v38, 0x3eedf032, v55
	v_mul_f32_e32 v102, 0xbf7e222b, v96
	v_add_f32_e32 v37, v38, v37
	v_fma_f32 v38, v57, s6, -v102
	v_mul_f32_e32 v108, 0x3df6dbef, v95
	v_add_f32_e32 v36, v38, v36
	v_mov_b32_e32 v38, v108
	;; [unrolled: 7-line block ×4, first 2 shown]
	v_fmac_f32_e32 v38, 0x3f52af12, v69
	v_mul_f32_e32 v113, 0xbf29c268, v63
	v_add_f32_e32 v37, v38, v37
	v_fma_f32 v38, v49, s10, -v113
	v_mul_f32_e32 v114, 0x3f7e222b, v80
	v_add_f32_e32 v38, v8, v38
	v_fma_f32 v39, v50, s6, -v114
	v_mul_f32_e32 v119, 0xbf3f9e67, v74
	v_add_f32_e32 v38, v39, v38
	v_mov_b32_e32 v39, v119
	v_mul_f32_e32 v120, 0x3df6dbef, v77
	v_fmac_f32_e32 v39, 0xbf29c268, v56
	v_mov_b32_e32 v115, v120
	v_add_f32_e32 v39, v9, v39
	v_fmac_f32_e32 v115, 0x3f7e222b, v52
	v_add_f32_e32 v39, v115, v39
	v_mul_f32_e32 v115, 0xbf52af12, v88
	v_fma_f32 v116, v54, s5, -v115
	v_mul_f32_e32 v121, 0x3f116cb1, v85
	v_add_f32_e32 v38, v116, v38
	v_mov_b32_e32 v116, v121
	v_fmac_f32_e32 v116, 0xbf52af12, v55
	v_add_f32_e32 v39, v116, v39
	v_mul_f32_e32 v116, 0x3e750f2a, v96
	v_fma_f32 v117, v57, s11, -v116
	v_mul_f32_e32 v122, 0xbf788fa5, v95
	v_add_f32_e32 v38, v117, v38
	v_mov_b32_e32 v117, v122
	;; [unrolled: 7-line block ×3, first 2 shown]
	v_fmac_f32_e32 v118, 0x3eedf032, v62
	v_add_f32_e32 v39, v118, v39
	v_mul_f32_e32 v118, 0xbf6f5d39, v112
	v_fma_f32 v124, v73, s7, -v118
	v_add_f32_e32 v38, v124, v38
	v_mul_f32_e32 v124, 0xbeb58ec6, v105
	v_mov_b32_e32 v125, v124
	v_fmac_f32_e32 v125, 0xbf6f5d39, v69
	s_movk_i32 s2, 0x7e
	v_add_f32_e32 v39, v125, v39
	v_cmp_gt_u32_e32 vcc, s2, v32
	s_barrier
	s_and_saveexec_b64 s[2:3], vcc
	s_cbranch_execz .LBB0_13
; %bb.12:
	v_mul_f32_e32 v127, 0xbe750f2a, v56
	v_mov_b32_e32 v125, v127
	v_mul_f32_e32 v128, 0x3eedf032, v52
	v_fmac_f32_e32 v125, 0xbf788fa5, v74
	v_mov_b32_e32 v126, v128
	v_add_f32_e32 v125, v9, v125
	v_fmac_f32_e32 v126, 0x3f62ad3f, v77
	v_mul_f32_e32 v129, 0xbf29c268, v55
	v_add_f32_e32 v125, v126, v125
	v_mov_b32_e32 v126, v129
	v_fmac_f32_e32 v126, 0xbf3f9e67, v85
	v_mul_f32_e32 v130, 0x3f52af12, v59
	v_add_f32_e32 v125, v126, v125
	v_mov_b32_e32 v126, v130
	v_fmac_f32_e32 v126, 0x3f116cb1, v95
	v_mul_f32_e32 v131, 0xbf6f5d39, v62
	v_add_f32_e32 v125, v126, v125
	v_mov_b32_e32 v126, v131
	v_fmac_f32_e32 v126, 0xbeb58ec6, v97
	v_mul_f32_e32 v63, 0xbe750f2a, v63
	v_add_f32_e32 v125, v126, v125
	v_fma_f32 v126, v49, s11, -v63
	v_mul_f32_e32 v80, 0x3eedf032, v80
	v_add_f32_e32 v126, v8, v126
	v_fma_f32 v132, v50, s4, -v80
	v_mul_f32_e32 v88, 0xbf29c268, v88
	v_fma_f32 v74, v74, s11, -v127
	v_fmac_f32_e32 v63, 0xbf788fa5, v49
	v_add_f32_e32 v126, v132, v126
	v_fma_f32 v132, v54, s10, -v88
	v_mul_f32_e32 v96, 0x3f52af12, v96
	v_fma_f32 v77, v77, s4, -v128
	v_add_f32_e32 v74, v9, v74
	v_add_f32_e32 v63, v8, v63
	v_fmac_f32_e32 v80, 0x3f62ad3f, v50
	v_add_f32_e32 v126, v132, v126
	v_fma_f32 v132, v57, s5, -v96
	v_mul_f32_e32 v104, 0xbf6f5d39, v104
	v_add_f32_e32 v74, v77, v74
	v_fma_f32 v77, v85, s10, -v129
	v_add_f32_e32 v63, v80, v63
	v_fmac_f32_e32 v88, 0xbf3f9e67, v54
	v_add_f32_e32 v126, v132, v126
	v_fma_f32 v132, v61, s7, -v104
	v_mul_f32_e32 v133, 0x3f7e222b, v69
	v_add_f32_e32 v74, v77, v74
	v_fma_f32 v77, v95, s5, -v130
	v_add_f32_e32 v63, v88, v63
	v_mul_f32_e32 v88, 0xbf3f9e67, v49
	v_add_f32_e32 v132, v132, v126
	v_mov_b32_e32 v126, v133
	v_add_f32_e32 v74, v77, v74
	v_fma_f32 v77, v97, s7, -v131
	v_fmac_f32_e32 v96, 0x3f116cb1, v57
	v_add_f32_e32 v88, v88, v113
	v_mul_f32_e32 v97, 0x3df6dbef, v50
	v_fmac_f32_e32 v126, 0x3df6dbef, v105
	v_mul_f32_e32 v112, 0x3f7e222b, v112
	v_add_f32_e32 v63, v96, v63
	v_fmac_f32_e32 v104, 0xbeb58ec6, v61
	v_add_f32_e32 v97, v97, v114
	v_add_f32_e32 v88, v8, v88
	;; [unrolled: 1-line block ×3, first 2 shown]
	v_fma_f32 v125, v73, s6, -v112
	v_add_f32_e32 v63, v104, v63
	v_fmac_f32_e32 v112, 0x3df6dbef, v73
	v_add_f32_e32 v88, v97, v88
	v_mul_f32_e32 v97, 0x3f116cb1, v54
	v_add_f32_e32 v74, v77, v74
	v_fma_f32 v77, v105, s6, -v133
	v_add_f32_e32 v95, v112, v63
	v_mul_f32_e32 v63, 0xbf29c268, v56
	v_add_f32_e32 v97, v97, v115
	v_add_f32_e32 v96, v77, v74
	v_sub_f32_e32 v63, v119, v63
	v_mul_f32_e32 v74, 0x3f7e222b, v52
	v_add_f32_e32 v88, v97, v88
	v_mul_f32_e32 v97, 0xbf788fa5, v57
	v_sub_f32_e32 v74, v120, v74
	v_add_f32_e32 v63, v9, v63
	v_add_f32_e32 v97, v97, v116
	;; [unrolled: 1-line block ×3, first 2 shown]
	v_mul_f32_e32 v74, 0xbf52af12, v55
	v_add_f32_e32 v88, v97, v88
	v_mul_f32_e32 v97, 0x3f62ad3f, v61
	v_sub_f32_e32 v74, v121, v74
	v_add_f32_e32 v97, v97, v117
	v_add_f32_e32 v63, v74, v63
	v_mul_f32_e32 v74, 0x3e750f2a, v59
	v_add_f32_e32 v88, v97, v88
	v_mul_f32_e32 v97, 0xbeb58ec6, v73
	v_sub_f32_e32 v74, v122, v74
	v_mul_f32_e32 v80, 0xbeedf032, v56
	v_mul_f32_e32 v112, 0xbf52af12, v56
	v_mul_f32_e32 v114, 0xbf7e222b, v56
	v_mul_f32_e32 v56, 0xbf6f5d39, v56
	v_add_f32_e32 v97, v97, v118
	v_add_f32_e32 v63, v74, v63
	v_mul_f32_e32 v74, 0x3eedf032, v62
	v_add_f32_e32 v104, v97, v88
	v_sub_f32_e32 v56, v109, v56
	v_mul_f32_e32 v88, 0x3f29c268, v52
	v_sub_f32_e32 v74, v123, v74
	v_sub_f32_e32 v88, v107, v88
	v_add_f32_e32 v56, v9, v56
	v_add_f32_e32 v63, v74, v63
	v_mul_f32_e32 v74, 0xbf6f5d39, v69
	v_add_f32_e32 v56, v88, v56
	v_mul_f32_e32 v88, 0x3eedf032, v55
	v_mul_f32_e32 v77, 0x3f62ad3f, v49
	;; [unrolled: 1-line block ×3, first 2 shown]
	v_sub_f32_e32 v74, v124, v74
	v_mul_f32_e32 v113, 0x3df6dbef, v49
	v_mul_f32_e32 v49, 0xbeb58ec6, v49
	v_sub_f32_e32 v88, v106, v88
	v_mul_f32_e32 v115, 0x3f116cb1, v50
	v_add_f32_e32 v105, v74, v63
	v_mul_f32_e32 v63, 0xbeb58ec6, v50
	v_mul_f32_e32 v97, 0xbf788fa5, v50
	;; [unrolled: 1-line block ×3, first 2 shown]
	v_add_f32_e32 v56, v88, v56
	v_mul_f32_e32 v88, 0xbf7e222b, v59
	v_add_f32_e32 v49, v49, v101
	v_mul_f32_e32 v106, 0x3df6dbef, v54
	v_sub_f32_e32 v88, v108, v88
	v_mul_f32_e32 v108, 0xbf788fa5, v54
	v_mul_f32_e32 v101, 0xbeb58ec6, v54
	;; [unrolled: 1-line block ×3, first 2 shown]
	v_add_f32_e32 v50, v50, v98
	v_add_f32_e32 v49, v8, v49
	;; [unrolled: 1-line block ×5, first 2 shown]
	v_mul_f32_e32 v50, 0x3df6dbef, v57
	v_add_f32_e32 v56, v88, v56
	v_mul_f32_e32 v88, 0x3e750f2a, v62
	v_add_f32_e32 v50, v50, v102
	v_mul_f32_e32 v116, 0xbf52af12, v52
	v_mul_f32_e32 v74, 0xbf6f5d39, v52
	;; [unrolled: 1-line block ×3, first 2 shown]
	v_sub_f32_e32 v88, v110, v88
	v_add_f32_e32 v49, v50, v49
	v_mul_f32_e32 v50, 0xbf788fa5, v61
	v_sub_f32_e32 v90, v90, v114
	v_mul_f32_e32 v107, 0xbf7e222b, v55
	v_add_f32_e32 v56, v88, v56
	v_mul_f32_e32 v88, 0x3f52af12, v69
	v_mul_f32_e32 v109, 0xbe750f2a, v55
	;; [unrolled: 1-line block ×3, first 2 shown]
	v_add_f32_e32 v50, v50, v100
	v_sub_f32_e32 v52, v92, v52
	v_add_f32_e32 v90, v9, v90
	v_sub_f32_e32 v88, v111, v88
	v_mul_f32_e32 v98, 0xbeb58ec6, v57
	v_mul_f32_e32 v103, 0xbf3f9e67, v57
	;; [unrolled: 1-line block ×4, first 2 shown]
	v_add_f32_e32 v49, v50, v49
	v_mul_f32_e32 v50, 0x3f116cb1, v73
	v_add_f32_e32 v52, v52, v90
	v_sub_f32_e32 v55, v91, v55
	v_add_f32_e32 v99, v50, v99
	v_mul_f32_e32 v100, 0xbf29c268, v62
	v_add_f32_e32 v50, v88, v56
	v_mul_f32_e32 v88, 0x3f7e222b, v62
	v_mul_f32_e32 v62, 0xbf52af12, v62
	v_add_f32_e32 v52, v55, v52
	v_sub_f32_e32 v55, v89, v57
	v_mul_f32_e32 v92, 0xbe750f2a, v69
	v_mul_f32_e32 v91, 0x3eedf032, v69
	;; [unrolled: 1-line block ×3, first 2 shown]
	v_add_f32_e32 v52, v55, v52
	v_sub_f32_e32 v55, v93, v62
	v_add_f32_e32 v52, v55, v52
	v_sub_f32_e32 v55, v94, v69
	v_add_f32_e32 v55, v55, v52
	v_add_f32_e32 v52, v113, v81
	;; [unrolled: 1-line block ×6, first 2 shown]
	v_mul_f32_e32 v110, 0xbf6f5d39, v59
	v_mul_f32_e32 v102, 0x3f29c268, v59
	v_mul_f32_e32 v59, 0xbf3f9e67, v61
	v_mul_f32_e32 v56, 0x3df6dbef, v61
	v_mul_f32_e32 v61, 0x3f116cb1, v61
	v_add_f32_e32 v52, v57, v52
	v_add_f32_e32 v54, v54, v84
	;; [unrolled: 1-line block ×3, first 2 shown]
	v_mul_f32_e32 v99, 0xbf788fa5, v73
	v_mul_f32_e32 v90, 0x3f62ad3f, v73
	;; [unrolled: 1-line block ×3, first 2 shown]
	v_add_f32_e32 v52, v54, v52
	v_add_f32_e32 v54, v61, v86
	v_add_f32_e32 v52, v54, v52
	v_add_f32_e32 v54, v73, v87
	v_add_f32_e32 v54, v54, v52
	v_sub_f32_e32 v52, v68, v112
	v_add_f32_e32 v52, v9, v52
	v_sub_f32_e32 v57, v70, v74
	v_add_f32_e32 v52, v57, v52
	;; [unrolled: 2-line block ×6, first 2 shown]
	v_add_f32_e32 v52, v85, v64
	v_sub_f32_e32 v43, v43, v80
	v_add_f32_e32 v41, v77, v41
	v_add_f32_e32 v52, v8, v52
	;; [unrolled: 1-line block ×16, first 2 shown]
	v_sub_f32_e32 v44, v44, v116
	v_add_f32_e32 v42, v115, v42
	v_add_f32_e32 v9, v9, v31
	v_add_f32_e32 v8, v8, v30
	v_add_f32_e32 v61, v63, v65
	v_add_f32_e32 v43, v44, v43
	v_sub_f32_e32 v44, v46, v107
	v_add_f32_e32 v41, v42, v41
	v_add_f32_e32 v42, v106, v45
	v_add_f32_e32 v9, v9, v21
	v_add_f32_e32 v8, v8, v20
	v_add_f32_e32 v52, v61, v52
	v_add_f32_e32 v61, v108, v66
	v_add_f32_e32 v43, v44, v43
	v_sub_f32_e32 v44, v48, v110
	v_add_f32_e32 v41, v42, v41
	v_add_f32_e32 v42, v98, v47
	;; [unrolled: 8-line block ×4, first 2 shown]
	v_add_f32_e32 v9, v9, v19
	v_add_f32_e32 v8, v8, v18
	s_movk_i32 s4, 0x60
	v_add_f32_e32 v52, v56, v52
	v_add_f32_e32 v56, v90, v76
	;; [unrolled: 1-line block ×6, first 2 shown]
	v_mad_u32_u24 v8, v32, s4, v40
	v_add_f32_e32 v125, v125, v132
	v_add_f32_e32 v56, v56, v52
	ds_write2_b64 v8, v[2:3], v[42:43] offset1:1
	ds_write2_b64 v8, v[56:57], v[54:55] offset0:2 offset1:3
	ds_write2_b64 v8, v[49:50], v[104:105] offset0:4 offset1:5
	;; [unrolled: 1-line block ×5, first 2 shown]
	ds_write_b64 v8, v[0:1] offset:96
.LBB0_13:
	s_or_b64 exec, exec, s[2:3]
	v_add_u32_e32 v2, 0x1800, v40
	s_waitcnt lgkmcnt(0)
	s_barrier
	ds_read2_b64 v[16:19], v2 offset0:51 offset1:233
	v_add_u32_e32 v2, 0xa00, v40
	ds_read2_b64 v[8:11], v40 offset1:182
	ds_read2_b64 v[12:15], v2 offset0:44 offset1:226
	ds_read2_b64 v[20:23], v33 offset0:31 offset1:213
	s_movk_i32 s2, 0x5b
	v_cmp_gt_u32_e32 vcc, s2, v32
	s_and_saveexec_b64 s[2:3], vcc
	s_cbranch_execz .LBB0_15
; %bb.14:
	ds_read_b64 v[38:39], v40 offset:5824
	ds_read_b64 v[36:37], v40 offset:12376
.LBB0_15:
	s_or_b64 exec, exec, s[2:3]
	s_movk_i32 s2, 0x4f
	v_mul_lo_u16_sdwa v27, v32, s2 dst_sel:DWORD dst_unused:UNUSED_PAD src0_sel:BYTE_0 src1_sel:DWORD
	v_add_u32_e32 v29, 0xb6, v32
	v_lshrrev_b16_e32 v33, 10, v27
	s_movk_i32 s2, 0x4ec5
	v_mul_lo_u16_e32 v2, 13, v33
	v_mul_u32_u24_sdwa v26, v29, s2 dst_sel:DWORD dst_unused:UNUSED_PAD src0_sel:WORD_0 src1_sel:DWORD
	v_sub_u16_e32 v3, v32, v2
	v_mov_b32_e32 v2, 3
	v_lshrrev_b32_e32 v50, 18, v26
	v_lshlrev_b32_sdwa v49, v2, v3 dst_sel:DWORD dst_unused:UNUSED_PAD src0_sel:DWORD src1_sel:BYTE_0
	v_mul_lo_u16_e32 v3, 13, v50
	v_add_u32_e32 v28, 0x16c, v32
	v_sub_u16_e32 v3, v29, v3
	v_lshlrev_b32_e32 v51, 3, v3
	v_mul_u32_u24_sdwa v3, v28, s2 dst_sel:DWORD dst_unused:UNUSED_PAD src0_sel:WORD_0 src1_sel:DWORD
	v_lshrrev_b32_e32 v52, 18, v3
	v_add_u32_e32 v31, 0x2d8, v32
	v_mul_lo_u16_e32 v25, 13, v52
	v_add_u32_e32 v24, 0x222, v32
	v_sub_u16_e32 v25, v28, v25
	v_mul_u32_u24_sdwa v30, v31, s2 dst_sel:DWORD dst_unused:UNUSED_PAD src0_sel:WORD_0 src1_sel:DWORD
	v_lshlrev_b32_e32 v53, 3, v25
	v_mul_u32_u24_sdwa v25, v24, s2 dst_sel:DWORD dst_unused:UNUSED_PAD src0_sel:WORD_0 src1_sel:DWORD
	v_lshrrev_b32_e32 v30, 18, v30
	v_lshrrev_b32_e32 v54, 18, v25
	v_mul_lo_u16_e32 v47, 13, v30
	v_mul_lo_u16_e32 v25, 13, v54
	v_sub_u16_e32 v31, v31, v47
	v_sub_u16_e32 v24, v24, v25
	v_lshlrev_b32_e32 v31, 3, v31
	v_lshlrev_b32_e32 v55, 3, v24
	global_load_dwordx2 v[24:25], v49, s[8:9]
	global_load_dwordx2 v[41:42], v51, s[8:9]
	;; [unrolled: 1-line block ×5, first 2 shown]
	v_mul_u32_u24_e32 v33, 0xd0, v33
	v_mul_u32_u24_e32 v50, 0xd0, v50
	;; [unrolled: 1-line block ×4, first 2 shown]
	v_add3_u32 v33, 0, v33, v49
	v_add3_u32 v49, 0, v50, v51
	;; [unrolled: 1-line block ×4, first 2 shown]
	s_waitcnt vmcnt(0) lgkmcnt(0)
	s_barrier
	v_mul_f32_e32 v52, v25, v17
	v_mul_f32_e32 v25, v25, v16
	;; [unrolled: 1-line block ×10, first 2 shown]
	v_fmac_f32_e32 v52, v24, v16
	v_fma_f32 v17, v24, v17, -v25
	v_fmac_f32_e32 v53, v41, v18
	v_fma_f32 v19, v41, v19, -v42
	v_fmac_f32_e32 v54, v43, v20
	v_fma_f32 v21, v43, v21, -v44
	v_fmac_f32_e32 v55, v45, v22
	v_fma_f32 v23, v45, v23, -v46
	v_fmac_f32_e32 v56, v36, v47
	v_fma_f32 v25, v37, v47, -v48
	v_sub_f32_e32 v16, v8, v52
	v_sub_f32_e32 v17, v9, v17
	;; [unrolled: 1-line block ×10, first 2 shown]
	v_fma_f32 v8, v8, 2.0, -v16
	v_fma_f32 v9, v9, 2.0, -v17
	;; [unrolled: 1-line block ×8, first 2 shown]
	ds_write2_b64 v33, v[8:9], v[16:17] offset1:13
	ds_write2_b64 v49, v[10:11], v[18:19] offset1:13
	;; [unrolled: 1-line block ×4, first 2 shown]
	s_and_saveexec_b64 s[2:3], vcc
	s_cbranch_execz .LBB0_17
; %bb.16:
	v_mul_lo_u16_e32 v10, 26, v30
	v_lshlrev_b32_e32 v10, 3, v10
	v_fma_f32 v9, v39, 2.0, -v25
	v_fma_f32 v8, v38, 2.0, -v24
	v_add3_u32 v10, 0, v31, v10
	ds_write2_b64 v10, v[8:9], v[24:25] offset1:13
.LBB0_17:
	s_or_b64 exec, exec, s[2:3]
	v_lshrrev_b16_e32 v27, 11, v27
	v_mul_lo_u16_e32 v8, 26, v27
	v_lshrrev_b32_e32 v26, 19, v26
	v_sub_u16_e32 v30, v32, v8
	v_mov_b32_e32 v8, 4
	v_mul_lo_u16_e32 v9, 26, v26
	v_lshlrev_b32_sdwa v8, v8, v30 dst_sel:DWORD dst_unused:UNUSED_PAD src0_sel:DWORD src1_sel:BYTE_0
	v_sub_u16_e32 v31, v29, v9
	s_waitcnt lgkmcnt(0)
	s_barrier
	global_load_dwordx4 v[14:17], v8, s[8:9] offset:104
	v_lshlrev_b32_e32 v8, 4, v31
	v_lshrrev_b32_e32 v3, 19, v3
	global_load_dwordx4 v[18:21], v8, s[8:9] offset:104
	v_mul_lo_u16_e32 v8, 26, v3
	v_sub_u16_e32 v33, v28, v8
	v_lshlrev_b32_e32 v8, 4, v33
	global_load_dwordx4 v[36:39], v8, s[8:9] offset:104
	v_add_u32_e32 v8, 0xa00, v40
	v_add_u32_e32 v9, 0x2000, v40
	ds_read2_b64 v[10:13], v8 offset0:44 offset1:226
	ds_read2_b64 v[41:44], v40 offset1:182
	v_add_u32_e32 v22, 0x1600, v40
	ds_read2_b64 v[45:48], v9 offset0:68 offset1:250
	ds_read_b64 v[8:9], v40 offset:11648
	ds_read2_b64 v[49:52], v22 offset0:24 offset1:206
	v_mul_u32_u24_e32 v27, 0x270, v27
	v_lshlrev_b32_sdwa v2, v2, v30 dst_sel:DWORD dst_unused:UNUSED_PAD src0_sel:DWORD src1_sel:BYTE_0
	v_add3_u32 v2, 0, v27, v2
	s_waitcnt vmcnt(0) lgkmcnt(0)
	s_barrier
	v_cmp_gt_u32_e64 s[2:3], 52, v32
	v_mul_f32_e32 v22, v15, v13
	v_mul_f32_e32 v15, v15, v12
	;; [unrolled: 1-line block ×8, first 2 shown]
	v_fmac_f32_e32 v22, v14, v12
	v_fma_f32 v12, v14, v13, -v15
	v_fmac_f32_e32 v23, v16, v45
	v_fma_f32 v13, v16, v46, -v17
	v_mul_f32_e32 v55, v37, v52
	v_mul_f32_e32 v37, v37, v51
	;; [unrolled: 1-line block ×4, first 2 shown]
	v_fmac_f32_e32 v53, v18, v49
	v_fma_f32 v14, v18, v50, -v19
	v_fmac_f32_e32 v54, v20, v47
	v_fma_f32 v17, v20, v48, -v21
	v_add_f32_e32 v15, v22, v23
	v_add_f32_e32 v18, v12, v13
	v_fmac_f32_e32 v55, v36, v51
	v_fma_f32 v36, v36, v52, -v37
	v_fmac_f32_e32 v56, v8, v38
	v_fma_f32 v9, v9, v38, -v39
	v_add_f32_e32 v8, v41, v22
	v_add_f32_e32 v16, v42, v12
	v_sub_f32_e32 v37, v22, v23
	v_add_f32_e32 v20, v43, v53
	v_add_f32_e32 v21, v53, v54
	v_sub_f32_e32 v38, v14, v17
	v_add_f32_e32 v22, v44, v14
	v_add_f32_e32 v39, v14, v17
	v_fma_f32 v14, -0.5, v15, v41
	v_fma_f32 v15, -0.5, v18, v42
	v_sub_f32_e32 v19, v12, v13
	v_add_f32_e32 v13, v16, v13
	v_add_f32_e32 v16, v20, v54
	v_fma_f32 v43, -0.5, v21, v43
	v_mov_b32_e32 v20, v14
	v_mov_b32_e32 v21, v15
	v_add_f32_e32 v12, v8, v23
	v_fmac_f32_e32 v44, -0.5, v39
	v_fmac_f32_e32 v14, 0x3f5db3d7, v19
	v_fmac_f32_e32 v20, 0xbf5db3d7, v19
	;; [unrolled: 1-line block ×3, first 2 shown]
	v_add_f32_e32 v19, v11, v36
	v_sub_f32_e32 v45, v53, v54
	v_add_f32_e32 v47, v55, v56
	v_sub_f32_e32 v48, v36, v9
	v_add_f32_e32 v17, v22, v17
	v_fmac_f32_e32 v15, 0xbf5db3d7, v37
	v_mov_b32_e32 v22, v43
	v_mov_b32_e32 v23, v44
	v_add_f32_e32 v19, v19, v9
	v_add_f32_e32 v9, v36, v9
	ds_write2_b64 v2, v[12:13], v[20:21] offset1:26
	ds_write_b64 v2, v[14:15] offset:416
	v_mul_u32_u24_e32 v2, 0x270, v26
	v_lshlrev_b32_e32 v12, 3, v31
	v_add_f32_e32 v46, v10, v55
	v_fma_f32 v10, -0.5, v47, v10
	v_fmac_f32_e32 v22, 0xbf5db3d7, v38
	v_fmac_f32_e32 v23, 0x3f5db3d7, v45
	v_fmac_f32_e32 v11, -0.5, v9
	v_add3_u32 v2, 0, v2, v12
	v_fmac_f32_e32 v43, 0x3f5db3d7, v38
	v_fmac_f32_e32 v44, 0xbf5db3d7, v45
	v_mov_b32_e32 v8, v10
	v_sub_f32_e32 v36, v55, v56
	v_mov_b32_e32 v9, v11
	ds_write2_b64 v2, v[16:17], v[22:23] offset1:26
	ds_write_b64 v2, v[43:44] offset:416
	v_mul_u32_u24_e32 v2, 0x270, v3
	v_lshlrev_b32_e32 v3, 3, v33
	v_add_f32_e32 v18, v46, v56
	v_fmac_f32_e32 v8, 0xbf5db3d7, v48
	v_fmac_f32_e32 v9, 0x3f5db3d7, v36
	v_add3_u32 v2, 0, v2, v3
	v_fmac_f32_e32 v10, 0x3f5db3d7, v48
	v_fmac_f32_e32 v11, 0xbf5db3d7, v36
	ds_write2_b64 v2, v[18:19], v[8:9] offset1:26
	ds_write_b64 v2, v[10:11] offset:416
	v_add_u32_e32 v2, 0xe00, v40
	s_waitcnt lgkmcnt(0)
	s_barrier
	ds_read2_b64 v[16:19], v2 offset0:20 offset1:254
	v_add_u32_e32 v2, 0x1d00, v40
	ds_read2_b64 v[12:15], v40 offset1:234
	ds_read2_b64 v[20:23], v2 offset0:8 offset1:242
	ds_read_b64 v[26:27], v40 offset:11232
	s_and_saveexec_b64 s[4:5], s[2:3]
	s_cbranch_execz .LBB0_19
; %bb.18:
	v_add_u32_e32 v0, 0x580, v40
	ds_read2_b64 v[8:11], v0 offset0:6 offset1:240
	v_add_u32_e32 v0, 0x1400, v40
	ds_read2_b32 v[24:25], v0 offset0:20 offset1:21
	v_add_u32_e32 v0, 0x1b00, v40
	ds_read2_b64 v[4:7], v0 offset0:20 offset1:254
	v_add_u32_e32 v0, 0x2a00, v40
	ds_read2_b64 v[0:3], v0 offset0:8 offset1:242
.LBB0_19:
	s_or_b64 exec, exec, s[4:5]
	v_lshrrev_b16_e32 v30, 1, v32
	v_and_b32_e32 v30, 0x7f, v30
	v_mul_lo_u16_e32 v30, 0xd3, v30
	v_lshrrev_b16_e32 v30, 13, v30
	v_mul_lo_u16_e32 v31, 0x4e, v30
	v_sub_u16_e32 v31, v32, v31
	v_mov_b32_e32 v33, 6
	v_mul_u32_u24_sdwa v33, v31, v33 dst_sel:DWORD dst_unused:UNUSED_PAD src0_sel:BYTE_0 src1_sel:DWORD
	v_lshlrev_b32_e32 v33, 3, v33
	global_load_dwordx4 v[36:39], v33, s[8:9] offset:520
	global_load_dwordx4 v[41:44], v33, s[8:9] offset:536
	;; [unrolled: 1-line block ×3, first 2 shown]
	s_mov_b32 s7, 0x3f3bfb3b
	s_mov_b32 s10, 0xbf3bfb3b
	;; [unrolled: 1-line block ×4, first 2 shown]
	v_mul_u32_u24_e32 v30, 0x1110, v30
	s_waitcnt vmcnt(0) lgkmcnt(0)
	s_barrier
	v_mul_f32_e32 v33, v37, v15
	v_mul_f32_e32 v37, v37, v14
	;; [unrolled: 1-line block ×12, first 2 shown]
	v_fmac_f32_e32 v33, v36, v14
	v_fma_f32 v14, v36, v15, -v37
	v_fmac_f32_e32 v49, v38, v16
	v_fma_f32 v15, v38, v17, -v39
	;; [unrolled: 2-line block ×6, first 2 shown]
	v_add_f32_e32 v20, v33, v53
	v_add_f32_e32 v21, v14, v19
	v_sub_f32_e32 v14, v14, v19
	v_add_f32_e32 v19, v49, v52
	v_add_f32_e32 v23, v15, v18
	v_sub_f32_e32 v15, v15, v18
	;; [unrolled: 3-line block ×4, first 2 shown]
	v_sub_f32_e32 v26, v49, v52
	v_sub_f32_e32 v33, v51, v50
	v_sub_f32_e32 v37, v19, v20
	v_sub_f32_e32 v38, v23, v21
	v_sub_f32_e32 v20, v20, v18
	v_sub_f32_e32 v21, v21, v27
	v_sub_f32_e32 v19, v18, v19
	v_sub_f32_e32 v23, v27, v23
	v_add_f32_e32 v17, v18, v17
	v_add_f32_e32 v18, v27, v36
	;; [unrolled: 1-line block ×3, first 2 shown]
	v_sub_f32_e32 v42, v33, v26
	v_sub_f32_e32 v26, v26, v22
	v_mul_f32_e32 v20, 0x3f4a47b2, v20
	v_mul_f32_e32 v21, 0x3f4a47b2, v21
	;; [unrolled: 1-line block ×4, first 2 shown]
	v_add_f32_e32 v13, v18, v13
	v_add_f32_e32 v41, v16, v15
	v_sub_f32_e32 v43, v16, v15
	v_sub_f32_e32 v33, v22, v33
	v_add_f32_e32 v22, v39, v22
	v_mul_f32_e32 v39, 0x3f08b237, v42
	v_mul_f32_e32 v42, 0xbf5ff5aa, v26
	v_fma_f32 v27, v37, s7, -v27
	v_fma_f32 v36, v38, s7, -v36
	;; [unrolled: 1-line block ×3, first 2 shown]
	v_fmac_f32_e32 v20, 0x3d64c772, v19
	v_fma_f32 v19, v38, s10, -v21
	v_mov_b32_e32 v38, v13
	v_sub_f32_e32 v16, v14, v16
	v_sub_f32_e32 v15, v15, v14
	v_add_f32_e32 v14, v41, v14
	v_mul_f32_e32 v41, 0x3f08b237, v43
	v_add_f32_e32 v12, v17, v12
	v_fmac_f32_e32 v21, 0x3d64c772, v23
	v_fma_f32 v23, v26, s6, -v39
	v_fmac_f32_e32 v39, 0xbeae86e6, v33
	v_fmac_f32_e32 v38, 0xbf955555, v18
	v_fma_f32 v33, v33, s11, -v42
	v_mul_f32_e32 v43, 0xbf5ff5aa, v15
	v_fma_f32 v26, v15, s6, -v41
	v_mov_b32_e32 v15, v12
	v_add_f32_e32 v44, v21, v38
	v_add_f32_e32 v21, v36, v38
	;; [unrolled: 1-line block ×3, first 2 shown]
	v_fmac_f32_e32 v23, 0xbee1c552, v22
	v_fmac_f32_e32 v33, 0xbee1c552, v22
	;; [unrolled: 1-line block ×4, first 2 shown]
	v_sub_f32_e32 v17, v36, v33
	v_add_f32_e32 v19, v23, v21
	v_sub_f32_e32 v21, v21, v23
	v_add_f32_e32 v23, v33, v36
	v_mov_b32_e32 v33, 3
	v_fma_f32 v42, v16, s11, -v43
	v_add_f32_e32 v43, v20, v15
	v_fmac_f32_e32 v39, 0xbee1c552, v22
	v_fmac_f32_e32 v41, 0xbee1c552, v14
	v_lshlrev_b32_sdwa v31, v33, v31 dst_sel:DWORD dst_unused:UNUSED_PAD src0_sel:DWORD src1_sel:BYTE_0
	v_add_f32_e32 v20, v27, v15
	v_add_f32_e32 v27, v37, v15
	v_fmac_f32_e32 v26, 0xbee1c552, v14
	v_fmac_f32_e32 v42, 0xbee1c552, v14
	v_add_f32_e32 v14, v41, v43
	v_sub_f32_e32 v15, v44, v39
	v_add3_u32 v30, 0, v30, v31
	v_add_f32_e32 v16, v42, v27
	v_sub_f32_e32 v18, v20, v26
	v_add_f32_e32 v20, v26, v20
	v_sub_f32_e32 v22, v27, v42
	ds_write2_b64 v30, v[12:13], v[14:15] offset1:78
	ds_write2_b64 v30, v[16:17], v[18:19] offset0:156 offset1:234
	v_add_u32_e32 v12, 0x800, v30
	v_sub_f32_e32 v26, v43, v41
	v_add_f32_e32 v27, v39, v44
	ds_write2_b64 v12, v[20:21], v[22:23] offset0:56 offset1:134
	ds_write_b64 v30, v[26:27] offset:3744
	s_and_saveexec_b64 s[4:5], s[2:3]
	s_cbranch_execz .LBB0_21
; %bb.20:
	v_lshrrev_b16_e32 v12, 1, v29
	v_mul_u32_u24_e32 v12, 0x6907, v12
	v_lshrrev_b32_e32 v12, 20, v12
	v_mul_lo_u16_e32 v12, 0x4e, v12
	v_sub_u16_e32 v26, v29, v12
	v_mul_u32_u24_e32 v12, 6, v26
	v_lshlrev_b32_e32 v27, 3, v12
	global_load_dwordx4 v[12:15], v27, s[8:9] offset:520
	global_load_dwordx4 v[16:19], v27, s[8:9] offset:552
	;; [unrolled: 1-line block ×3, first 2 shown]
	s_waitcnt vmcnt(2)
	v_mul_f32_e32 v27, v11, v13
	s_waitcnt vmcnt(1)
	v_mul_f32_e32 v30, v3, v19
	v_mul_f32_e32 v36, v25, v15
	;; [unrolled: 1-line block ×3, first 2 shown]
	s_waitcnt vmcnt(0)
	v_mul_f32_e32 v31, v7, v23
	v_mul_f32_e32 v33, v5, v21
	;; [unrolled: 1-line block ×8, first 2 shown]
	v_fmac_f32_e32 v27, v10, v12
	v_fmac_f32_e32 v30, v2, v18
	;; [unrolled: 1-line block ×6, first 2 shown]
	v_fma_f32 v0, v3, v18, -v19
	v_fma_f32 v2, v11, v12, -v13
	;; [unrolled: 1-line block ×6, first 2 shown]
	v_add_f32_e32 v14, v27, v30
	v_add_f32_e32 v16, v36, v37
	v_sub_f32_e32 v7, v31, v33
	v_sub_f32_e32 v10, v36, v37
	v_add_f32_e32 v11, v2, v0
	v_add_f32_e32 v12, v3, v4
	v_add_f32_e32 v13, v5, v1
	v_add_f32_e32 v15, v33, v31
	v_sub_f32_e32 v17, v2, v0
	v_sub_f32_e32 v0, v4, v3
	;; [unrolled: 1-line block ×3, first 2 shown]
	v_add_f32_e32 v21, v16, v14
	v_sub_f32_e32 v6, v27, v30
	v_add_f32_e32 v3, v7, v10
	v_sub_f32_e32 v5, v11, v12
	v_add_f32_e32 v18, v13, v11
	v_sub_f32_e32 v19, v14, v15
	v_sub_f32_e32 v20, v15, v16
	v_sub_f32_e32 v22, v17, v0
	;; [unrolled: 1-line block ×3, first 2 shown]
	v_add_f32_e32 v0, v0, v4
	v_add_f32_e32 v15, v15, v21
	v_sub_f32_e32 v2, v6, v7
	v_sub_f32_e32 v1, v7, v10
	;; [unrolled: 1-line block ×4, first 2 shown]
	v_add_f32_e32 v6, v3, v6
	v_mul_f32_e32 v3, 0x3f4a47b2, v5
	v_add_f32_e32 v5, v12, v18
	v_mul_f32_e32 v12, 0x3f4a47b2, v19
	v_add_f32_e32 v21, v0, v17
	v_add_f32_e32 v0, v8, v15
	v_sub_f32_e32 v11, v13, v11
	v_sub_f32_e32 v13, v16, v14
	v_mul_f32_e32 v14, 0x3f08b237, v1
	v_add_f32_e32 v1, v9, v5
	v_mov_b32_e32 v9, v12
	v_mov_b32_e32 v8, v0
	v_fmac_f32_e32 v9, 0x3d64c772, v20
	v_fmac_f32_e32 v8, 0xbf955555, v15
	v_mul_f32_e32 v18, 0x3d64c772, v20
	v_mul_f32_e32 v19, 0x3f08b237, v23
	v_mul_f32_e32 v23, 0xbf5ff5aa, v10
	v_mov_b32_e32 v24, v14
	v_add_f32_e32 v20, v9, v8
	v_fma_f32 v9, v13, s10, -v12
	v_mov_b32_e32 v25, v3
	v_fma_f32 v23, v2, s11, -v23
	v_fmac_f32_e32 v24, 0xbeae86e6, v2
	v_add_f32_e32 v12, v9, v8
	v_sub_f32_e32 v9, v4, v17
	v_fma_f32 v10, v10, s6, -v14
	v_mul_f32_e32 v16, 0x3d64c772, v7
	v_mov_b32_e32 v27, v19
	v_fmac_f32_e32 v25, 0x3d64c772, v7
	v_mov_b32_e32 v7, v1
	v_fmac_f32_e32 v23, 0xbee1c552, v6
	v_fmac_f32_e32 v24, 0xbee1c552, v6
	v_mul_f32_e32 v4, 0xbf5ff5aa, v9
	v_fmac_f32_e32 v10, 0xbee1c552, v6
	v_fma_f32 v14, v9, s6, -v19
	v_fma_f32 v6, v13, s7, -v18
	;; [unrolled: 1-line block ×3, first 2 shown]
	v_fmac_f32_e32 v27, 0xbeae86e6, v22
	v_fmac_f32_e32 v7, 0xbf955555, v5
	v_fma_f32 v17, v22, s11, -v4
	v_fma_f32 v11, v11, s7, -v16
	v_fmac_f32_e32 v14, 0xbee1c552, v21
	v_add_f32_e32 v8, v6, v8
	v_fmac_f32_e32 v27, 0xbee1c552, v21
	v_add_f32_e32 v15, v25, v7
	;; [unrolled: 2-line block ×3, first 2 shown]
	v_add_f32_e32 v6, v14, v8
	v_sub_f32_e32 v8, v8, v14
	v_lshl_add_u32 v14, v26, 3, 0
	v_add_f32_e32 v25, v3, v7
	v_add_f32_e32 v3, v24, v15
	v_sub_f32_e32 v4, v12, v17
	v_sub_f32_e32 v7, v11, v10
	v_add_f32_e32 v9, v10, v11
	v_add_f32_e32 v10, v17, v12
	v_sub_f32_e32 v13, v15, v24
	v_add_f32_e32 v12, v27, v20
	v_add_u32_e32 v15, 0x2000, v14
	v_sub_f32_e32 v11, v25, v23
	ds_write2_b64 v15, v[0:1], v[12:13] offset0:68 offset1:146
	v_add_u32_e32 v0, 0x2400, v14
	v_add_f32_e32 v5, v23, v25
	ds_write2_b64 v0, v[10:11], v[8:9] offset0:96 offset1:174
	v_add_u32_e32 v0, 0x2800, v14
	v_sub_f32_e32 v2, v20, v27
	ds_write2_b64 v0, v[6:7], v[4:5] offset0:124 offset1:202
	ds_write_b64 v14, v[2:3] offset:12480
.LBB0_21:
	s_or_b64 exec, exec, s[4:5]
	v_lshlrev_b32_e32 v0, 1, v32
	v_mov_b32_e32 v1, 0
	v_lshlrev_b64 v[2:3], 3, v[0:1]
	v_mov_b32_e32 v12, s9
	v_add_co_u32_e64 v0, s[2:3], s8, v2
	v_addc_co_u32_e64 v3, s[2:3], v12, v3, s[2:3]
	s_movk_i32 s4, 0x1000
	v_add_co_u32_e64 v2, s[2:3], s4, v0
	v_lshlrev_b32_e32 v0, 1, v29
	v_lshlrev_b64 v[6:7], 3, v[0:1]
	v_addc_co_u32_e64 v3, s[2:3], 0, v3, s[2:3]
	v_add_co_u32_e64 v0, s[2:3], s8, v6
	v_addc_co_u32_e64 v7, s[2:3], v12, v7, s[2:3]
	v_add_co_u32_e64 v6, s[2:3], s4, v0
	v_lshlrev_b32_e32 v0, 1, v28
	v_lshlrev_b64 v[10:11], 3, v[0:1]
	v_addc_co_u32_e64 v7, s[2:3], 0, v7, s[2:3]
	v_add_co_u32_e64 v0, s[2:3], s8, v10
	v_addc_co_u32_e64 v11, s[2:3], v12, v11, s[2:3]
	s_waitcnt lgkmcnt(0)
	s_barrier
	global_load_dwordx4 v[2:5], v[2:3], off offset:168
	v_add_co_u32_e64 v10, s[2:3], s4, v0
	global_load_dwordx4 v[6:9], v[6:7], off offset:168
	v_addc_co_u32_e64 v11, s[2:3], 0, v11, s[2:3]
	global_load_dwordx4 v[10:13], v[10:11], off offset:168
	v_add_u32_e32 v0, 0xa00, v40
	v_add_u32_e32 v33, 0x2000, v40
	ds_read2_b64 v[18:21], v0 offset0:44 offset1:226
	ds_read2_b64 v[14:17], v40 offset1:182
	v_add_u32_e32 v36, 0x1600, v40
	ds_read2_b64 v[22:25], v33 offset0:68 offset1:250
	ds_read_b64 v[30:31], v40 offset:11648
	ds_read2_b64 v[26:29], v36 offset0:24 offset1:206
	s_waitcnt vmcnt(0) lgkmcnt(0)
	s_barrier
	s_add_u32 s6, s8, 0x32c8
	s_addc_u32 s7, s9, 0
	v_cmp_ne_u32_e64 s[2:3], 0, v32
	v_mul_f32_e32 v37, v3, v21
	v_mul_f32_e32 v3, v3, v20
	;; [unrolled: 1-line block ×4, first 2 shown]
	v_fmac_f32_e32 v37, v2, v20
	v_fma_f32 v2, v2, v21, -v3
	v_fmac_f32_e32 v38, v4, v22
	v_fma_f32 v3, v4, v23, -v5
	v_mul_f32_e32 v20, v7, v27
	v_mul_f32_e32 v4, v7, v26
	;; [unrolled: 1-line block ×4, first 2 shown]
	v_fmac_f32_e32 v20, v6, v26
	v_fma_f32 v22, v6, v27, -v4
	v_fmac_f32_e32 v21, v8, v24
	v_mul_f32_e32 v24, v11, v29
	v_mul_f32_e32 v4, v11, v28
	v_add_f32_e32 v7, v37, v38
	v_fma_f32 v23, v8, v25, -v5
	v_add_f32_e32 v6, v14, v37
	v_add_f32_e32 v8, v15, v2
	v_fmac_f32_e32 v24, v10, v28
	v_fma_f32 v26, v10, v29, -v4
	v_fma_f32 v4, -0.5, v7, v14
	v_add_f32_e32 v10, v20, v21
	v_mul_f32_e32 v5, v30, v13
	v_sub_f32_e32 v9, v2, v3
	v_add_f32_e32 v11, v2, v3
	v_add_f32_e32 v2, v6, v38
	;; [unrolled: 1-line block ×4, first 2 shown]
	v_mov_b32_e32 v6, v4
	v_fma_f32 v16, -0.5, v10, v16
	v_mul_f32_e32 v25, v31, v13
	v_fma_f32 v27, v31, v12, -v5
	v_fma_f32 v5, -0.5, v11, v15
	v_fmac_f32_e32 v4, 0x3f5db3d7, v9
	v_fmac_f32_e32 v6, 0xbf5db3d7, v9
	v_sub_f32_e32 v9, v22, v23
	v_mov_b32_e32 v10, v16
	v_add_f32_e32 v11, v22, v23
	v_sub_f32_e32 v13, v37, v38
	v_fmac_f32_e32 v25, v30, v12
	v_mov_b32_e32 v7, v5
	v_fmac_f32_e32 v10, 0xbf5db3d7, v9
	v_fmac_f32_e32 v16, 0x3f5db3d7, v9
	v_add_f32_e32 v9, v17, v22
	v_fmac_f32_e32 v17, -0.5, v11
	v_fmac_f32_e32 v5, 0xbf5db3d7, v13
	v_fmac_f32_e32 v7, 0x3f5db3d7, v13
	v_sub_f32_e32 v12, v20, v21
	v_mov_b32_e32 v11, v17
	v_add_f32_e32 v13, v24, v25
	v_fmac_f32_e32 v11, 0x3f5db3d7, v12
	v_fmac_f32_e32 v17, 0xbf5db3d7, v12
	v_add_f32_e32 v12, v18, v24
	v_fma_f32 v18, -0.5, v13, v18
	v_sub_f32_e32 v13, v26, v27
	v_mov_b32_e32 v14, v18
	v_add_f32_e32 v15, v26, v27
	v_fmac_f32_e32 v14, 0xbf5db3d7, v13
	v_fmac_f32_e32 v18, 0x3f5db3d7, v13
	v_add_f32_e32 v13, v19, v26
	v_fmac_f32_e32 v19, -0.5, v15
	v_add_f32_e32 v8, v8, v21
	v_add_f32_e32 v9, v9, v23
	v_sub_f32_e32 v20, v24, v25
	v_mov_b32_e32 v15, v19
	v_add_f32_e32 v12, v12, v25
	v_add_f32_e32 v13, v13, v27
	v_fmac_f32_e32 v15, 0x3f5db3d7, v20
	v_fmac_f32_e32 v19, 0xbf5db3d7, v20
	ds_write2_b64 v40, v[2:3], v[8:9] offset1:182
	ds_write2_b64 v33, v[4:5], v[16:17] offset0:68 offset1:250
	ds_write2_b64 v0, v[12:13], v[6:7] offset0:44 offset1:226
	;; [unrolled: 1-line block ×3, first 2 shown]
	ds_write_b64 v40, v[18:19] offset:11648
	s_waitcnt lgkmcnt(0)
	s_barrier
	ds_read_b64 v[2:3], v40
	v_lshlrev_b32_e32 v0, 3, v32
	v_sub_u32_e32 v8, 0, v0
                                        ; implicit-def: $vgpr5
                                        ; implicit-def: $vgpr9
                                        ; implicit-def: $vgpr6_vgpr7
	s_and_saveexec_b64 s[4:5], s[2:3]
	s_xor_b64 s[4:5], exec, s[4:5]
	s_cbranch_execz .LBB0_23
; %bb.22:
	v_mov_b32_e32 v33, v1
	v_lshlrev_b64 v[0:1], 3, v[32:33]
	v_mov_b32_e32 v4, s7
	v_add_co_u32_e64 v0, s[2:3], s6, v0
	v_addc_co_u32_e64 v1, s[2:3], v4, v1, s[2:3]
	global_load_dwordx2 v[0:1], v[0:1], off
	ds_read_b64 v[4:5], v8 offset:13104
	s_waitcnt lgkmcnt(0)
	v_add_f32_e32 v6, v4, v2
	v_sub_f32_e32 v2, v2, v4
	v_add_f32_e32 v7, v5, v3
	v_sub_f32_e32 v3, v3, v5
	v_mul_f32_e32 v2, 0.5, v2
	v_mul_f32_e32 v4, 0.5, v7
	;; [unrolled: 1-line block ×3, first 2 shown]
	s_waitcnt vmcnt(0)
	v_mul_f32_e32 v5, v1, v2
	v_fma_f32 v7, v4, v1, v3
	v_fma_f32 v1, v4, v1, -v3
	v_fma_f32 v3, 0.5, v6, v5
	v_fma_f32 v6, v6, 0.5, -v5
	v_fma_f32 v9, -v0, v2, v7
	v_fmac_f32_e32 v3, v0, v4
	v_fma_f32 v4, -v0, v4, v6
	v_mov_b32_e32 v6, v32
	v_fma_f32 v5, -v0, v2, v1
	ds_write_b32 v40, v3
	v_mov_b32_e32 v7, v33
                                        ; implicit-def: $vgpr2_vgpr3
.LBB0_23:
	s_andn2_saveexec_b64 s[2:3], s[4:5]
	s_cbranch_execz .LBB0_25
; %bb.24:
	v_mov_b32_e32 v9, 0
	ds_read_b32 v0, v9 offset:6556
	v_mov_b32_e32 v6, 0
	s_waitcnt lgkmcnt(1)
	v_add_f32_e32 v1, v2, v3
	v_sub_f32_e32 v4, v2, v3
	v_mov_b32_e32 v7, 0
	s_waitcnt lgkmcnt(0)
	v_xor_b32_e32 v0, 0x80000000, v0
	v_mov_b32_e32 v5, v9
	ds_write_b32 v40, v1
	ds_write_b32 v9, v0 offset:6556
.LBB0_25:
	s_or_b64 exec, exec, s[2:3]
	v_lshlrev_b64 v[0:1], 3, v[6:7]
	s_waitcnt lgkmcnt(0)
	v_mov_b32_e32 v3, s7
	v_add_co_u32_e64 v2, s[2:3], s6, v0
	v_addc_co_u32_e64 v3, s[2:3], v3, v1, s[2:3]
	global_load_dwordx2 v[6:7], v[2:3], off offset:1456
	global_load_dwordx2 v[10:11], v[2:3], off offset:2912
	s_movk_i32 s2, 0x1000
	v_add_co_u32_e64 v12, s[2:3], s2, v2
	v_addc_co_u32_e64 v13, s[2:3], 0, v3, s[2:3]
	global_load_dwordx2 v[12:13], v[12:13], off offset:272
	ds_write_b32 v40, v9 offset:4
	ds_write_b64 v8, v[4:5] offset:13104
	ds_read_b64 v[4:5], v40 offset:1456
	ds_read_b64 v[14:15], v8 offset:11648
	s_waitcnt lgkmcnt(0)
	v_add_f32_e32 v9, v4, v14
	v_sub_f32_e32 v4, v4, v14
	v_add_f32_e32 v16, v5, v15
	v_sub_f32_e32 v5, v5, v15
	v_mul_f32_e32 v15, 0.5, v4
	v_mul_f32_e32 v14, 0.5, v16
	v_mul_f32_e32 v4, 0.5, v5
	s_waitcnt vmcnt(2)
	v_mul_f32_e32 v16, v7, v15
	v_fma_f32 v5, v14, v7, v4
	v_fma_f32 v7, v14, v7, -v4
	v_fma_f32 v4, 0.5, v9, v16
	v_fma_f32 v5, -v6, v15, v5
	v_fma_f32 v9, v9, 0.5, -v16
	v_fmac_f32_e32 v4, v6, v14
	v_fma_f32 v7, -v6, v15, v7
	v_fma_f32 v6, -v6, v14, v9
	ds_write_b64 v40, v[4:5] offset:1456
	ds_write_b64 v8, v[6:7] offset:11648
	ds_read_b64 v[4:5], v40 offset:2912
	ds_read_b64 v[6:7], v8 offset:10192
	s_waitcnt lgkmcnt(0)
	v_add_f32_e32 v9, v4, v6
	v_sub_f32_e32 v4, v4, v6
	v_add_f32_e32 v14, v5, v7
	v_sub_f32_e32 v5, v5, v7
	v_mul_f32_e32 v7, 0.5, v4
	v_mul_f32_e32 v6, 0.5, v14
	v_mul_f32_e32 v4, 0.5, v5
	s_waitcnt vmcnt(1)
	v_mul_f32_e32 v14, v11, v7
	v_fma_f32 v5, v6, v11, v4
	v_fma_f32 v11, v6, v11, -v4
	v_fma_f32 v4, 0.5, v9, v14
	v_fma_f32 v5, -v10, v7, v5
	v_fma_f32 v9, v9, 0.5, -v14
	v_fmac_f32_e32 v4, v10, v6
	v_fma_f32 v7, -v10, v7, v11
	v_fma_f32 v6, -v10, v6, v9
	ds_write_b64 v40, v[4:5] offset:2912
	;; [unrolled: 22-line block ×3, first 2 shown]
	ds_write_b64 v8, v[6:7] offset:8736
	s_and_saveexec_b64 s[2:3], vcc
	s_cbranch_execz .LBB0_27
; %bb.26:
	v_add_co_u32_e32 v2, vcc, 0x1000, v2
	v_addc_co_u32_e32 v3, vcc, 0, v3, vcc
	global_load_dwordx2 v[2:3], v[2:3], off offset:1728
	ds_read_b64 v[4:5], v40 offset:5824
	ds_read_b64 v[6:7], v8 offset:7280
	s_waitcnt lgkmcnt(0)
	v_add_f32_e32 v9, v4, v6
	v_sub_f32_e32 v4, v4, v6
	v_add_f32_e32 v10, v5, v7
	v_sub_f32_e32 v5, v5, v7
	v_mul_f32_e32 v6, 0.5, v4
	v_mul_f32_e32 v7, 0.5, v10
	;; [unrolled: 1-line block ×3, first 2 shown]
	s_waitcnt vmcnt(0)
	v_mul_f32_e32 v5, v3, v6
	v_fma_f32 v10, v7, v3, v4
	v_fma_f32 v11, v7, v3, -v4
	v_fma_f32 v3, 0.5, v9, v5
	v_fma_f32 v4, -v2, v6, v10
	v_fma_f32 v5, v9, 0.5, -v5
	v_fmac_f32_e32 v3, v2, v7
	v_fma_f32 v6, -v2, v6, v11
	v_fma_f32 v5, -v2, v7, v5
	ds_write_b64 v40, v[3:4] offset:5824
	ds_write_b64 v8, v[5:6] offset:7280
.LBB0_27:
	s_or_b64 exec, exec, s[2:3]
	s_waitcnt lgkmcnt(0)
	s_barrier
	s_and_saveexec_b64 s[2:3], s[0:1]
	s_cbranch_execz .LBB0_30
; %bb.28:
	ds_read2_b64 v[4:7], v40 offset1:182
	v_mov_b32_e32 v2, s13
	v_add_co_u32_e32 v3, vcc, s12, v34
	v_add_u32_e32 v8, 0xa00, v40
	v_addc_co_u32_e32 v2, vcc, v2, v35, vcc
	ds_read2_b64 v[8:11], v8 offset0:44 offset1:226
	v_add_co_u32_e32 v0, vcc, v3, v0
	v_addc_co_u32_e32 v1, vcc, v2, v1, vcc
	s_waitcnt lgkmcnt(1)
	global_store_dwordx2 v[0:1], v[4:5], off
	global_store_dwordx2 v[0:1], v[6:7], off offset:1456
	s_waitcnt lgkmcnt(0)
	global_store_dwordx2 v[0:1], v[8:9], off offset:2912
	v_add_u32_e32 v4, 0x1600, v40
	ds_read2_b64 v[4:7], v4 offset0:24 offset1:206
	v_add_co_u32_e32 v8, vcc, 0x1000, v0
	v_addc_co_u32_e32 v9, vcc, 0, v1, vcc
	global_store_dwordx2 v[8:9], v[10:11], off offset:272
	s_waitcnt lgkmcnt(0)
	global_store_dwordx2 v[8:9], v[4:5], off offset:1728
	global_store_dwordx2 v[8:9], v[6:7], off offset:3184
	v_add_u32_e32 v4, 0x2000, v40
	ds_read2_b64 v[4:7], v4 offset0:68 offset1:250
	v_add_co_u32_e32 v0, vcc, 0x2000, v0
	ds_read_b64 v[8:9], v40 offset:11648
	v_addc_co_u32_e32 v1, vcc, 0, v1, vcc
	s_movk_i32 s0, 0xb5
	v_cmp_eq_u32_e32 vcc, s0, v32
	s_waitcnt lgkmcnt(1)
	global_store_dwordx2 v[0:1], v[4:5], off offset:544
	global_store_dwordx2 v[0:1], v[6:7], off offset:2000
	s_waitcnt lgkmcnt(0)
	global_store_dwordx2 v[0:1], v[8:9], off offset:3456
	s_and_b64 exec, exec, vcc
	s_cbranch_execz .LBB0_30
; %bb.29:
	v_mov_b32_e32 v0, 0
	ds_read_b64 v[0:1], v0 offset:13104
	v_add_co_u32_e32 v3, vcc, 0x3000, v3
	v_addc_co_u32_e32 v4, vcc, 0, v2, vcc
	s_waitcnt lgkmcnt(0)
	global_store_dwordx2 v[3:4], v[0:1], off offset:816
.LBB0_30:
	s_endpgm
	.section	.rodata,"a",@progbits
	.p2align	6, 0x0
	.amdhsa_kernel fft_rtc_back_len1638_factors_13_2_3_7_3_wgs_182_tpt_182_halfLds_sp_ip_CI_unitstride_sbrr_R2C_dirReg
		.amdhsa_group_segment_fixed_size 0
		.amdhsa_private_segment_fixed_size 0
		.amdhsa_kernarg_size 88
		.amdhsa_user_sgpr_count 6
		.amdhsa_user_sgpr_private_segment_buffer 1
		.amdhsa_user_sgpr_dispatch_ptr 0
		.amdhsa_user_sgpr_queue_ptr 0
		.amdhsa_user_sgpr_kernarg_segment_ptr 1
		.amdhsa_user_sgpr_dispatch_id 0
		.amdhsa_user_sgpr_flat_scratch_init 0
		.amdhsa_user_sgpr_private_segment_size 0
		.amdhsa_uses_dynamic_stack 0
		.amdhsa_system_sgpr_private_segment_wavefront_offset 0
		.amdhsa_system_sgpr_workgroup_id_x 1
		.amdhsa_system_sgpr_workgroup_id_y 0
		.amdhsa_system_sgpr_workgroup_id_z 0
		.amdhsa_system_sgpr_workgroup_info 0
		.amdhsa_system_vgpr_workitem_id 0
		.amdhsa_next_free_vgpr 134
		.amdhsa_next_free_sgpr 22
		.amdhsa_reserve_vcc 1
		.amdhsa_reserve_flat_scratch 0
		.amdhsa_float_round_mode_32 0
		.amdhsa_float_round_mode_16_64 0
		.amdhsa_float_denorm_mode_32 3
		.amdhsa_float_denorm_mode_16_64 3
		.amdhsa_dx10_clamp 1
		.amdhsa_ieee_mode 1
		.amdhsa_fp16_overflow 0
		.amdhsa_exception_fp_ieee_invalid_op 0
		.amdhsa_exception_fp_denorm_src 0
		.amdhsa_exception_fp_ieee_div_zero 0
		.amdhsa_exception_fp_ieee_overflow 0
		.amdhsa_exception_fp_ieee_underflow 0
		.amdhsa_exception_fp_ieee_inexact 0
		.amdhsa_exception_int_div_zero 0
	.end_amdhsa_kernel
	.text
.Lfunc_end0:
	.size	fft_rtc_back_len1638_factors_13_2_3_7_3_wgs_182_tpt_182_halfLds_sp_ip_CI_unitstride_sbrr_R2C_dirReg, .Lfunc_end0-fft_rtc_back_len1638_factors_13_2_3_7_3_wgs_182_tpt_182_halfLds_sp_ip_CI_unitstride_sbrr_R2C_dirReg
                                        ; -- End function
	.section	.AMDGPU.csdata,"",@progbits
; Kernel info:
; codeLenInByte = 9292
; NumSgprs: 26
; NumVgprs: 134
; ScratchSize: 0
; MemoryBound: 0
; FloatMode: 240
; IeeeMode: 1
; LDSByteSize: 0 bytes/workgroup (compile time only)
; SGPRBlocks: 3
; VGPRBlocks: 33
; NumSGPRsForWavesPerEU: 26
; NumVGPRsForWavesPerEU: 134
; Occupancy: 1
; WaveLimiterHint : 1
; COMPUTE_PGM_RSRC2:SCRATCH_EN: 0
; COMPUTE_PGM_RSRC2:USER_SGPR: 6
; COMPUTE_PGM_RSRC2:TRAP_HANDLER: 0
; COMPUTE_PGM_RSRC2:TGID_X_EN: 1
; COMPUTE_PGM_RSRC2:TGID_Y_EN: 0
; COMPUTE_PGM_RSRC2:TGID_Z_EN: 0
; COMPUTE_PGM_RSRC2:TIDIG_COMP_CNT: 0
	.type	__hip_cuid_cec49419064d74ae,@object ; @__hip_cuid_cec49419064d74ae
	.section	.bss,"aw",@nobits
	.globl	__hip_cuid_cec49419064d74ae
__hip_cuid_cec49419064d74ae:
	.byte	0                               ; 0x0
	.size	__hip_cuid_cec49419064d74ae, 1

	.ident	"AMD clang version 19.0.0git (https://github.com/RadeonOpenCompute/llvm-project roc-6.4.0 25133 c7fe45cf4b819c5991fe208aaa96edf142730f1d)"
	.section	".note.GNU-stack","",@progbits
	.addrsig
	.addrsig_sym __hip_cuid_cec49419064d74ae
	.amdgpu_metadata
---
amdhsa.kernels:
  - .args:
      - .actual_access:  read_only
        .address_space:  global
        .offset:         0
        .size:           8
        .value_kind:     global_buffer
      - .offset:         8
        .size:           8
        .value_kind:     by_value
      - .actual_access:  read_only
        .address_space:  global
        .offset:         16
        .size:           8
        .value_kind:     global_buffer
      - .actual_access:  read_only
        .address_space:  global
        .offset:         24
        .size:           8
        .value_kind:     global_buffer
      - .offset:         32
        .size:           8
        .value_kind:     by_value
      - .actual_access:  read_only
        .address_space:  global
        .offset:         40
        .size:           8
        .value_kind:     global_buffer
      - .actual_access:  read_only
        .address_space:  global
        .offset:         48
        .size:           8
        .value_kind:     global_buffer
      - .offset:         56
        .size:           4
        .value_kind:     by_value
      - .actual_access:  read_only
        .address_space:  global
        .offset:         64
        .size:           8
        .value_kind:     global_buffer
      - .actual_access:  read_only
        .address_space:  global
        .offset:         72
        .size:           8
        .value_kind:     global_buffer
      - .address_space:  global
        .offset:         80
        .size:           8
        .value_kind:     global_buffer
    .group_segment_fixed_size: 0
    .kernarg_segment_align: 8
    .kernarg_segment_size: 88
    .language:       OpenCL C
    .language_version:
      - 2
      - 0
    .max_flat_workgroup_size: 182
    .name:           fft_rtc_back_len1638_factors_13_2_3_7_3_wgs_182_tpt_182_halfLds_sp_ip_CI_unitstride_sbrr_R2C_dirReg
    .private_segment_fixed_size: 0
    .sgpr_count:     26
    .sgpr_spill_count: 0
    .symbol:         fft_rtc_back_len1638_factors_13_2_3_7_3_wgs_182_tpt_182_halfLds_sp_ip_CI_unitstride_sbrr_R2C_dirReg.kd
    .uniform_work_group_size: 1
    .uses_dynamic_stack: false
    .vgpr_count:     134
    .vgpr_spill_count: 0
    .wavefront_size: 64
amdhsa.target:   amdgcn-amd-amdhsa--gfx906
amdhsa.version:
  - 1
  - 2
...

	.end_amdgpu_metadata
